;; amdgpu-corpus repo=zjin-lcf/HeCBench kind=compiled arch=gfx950 opt=O3
	.amdgcn_target "amdgcn-amd-amdhsa--gfx950"
	.amdhsa_code_object_version 6
	.text
	.protected	_Z7rombergddPd          ; -- Begin function _Z7rombergddPd
	.globl	_Z7rombergddPd
	.p2align	8
	.type	_Z7rombergddPd,@function
_Z7rombergddPd:                         ; @_Z7rombergddPd
; %bb.0:
	s_load_dwordx4 s[8:11], s[0:1], 0x0
	s_load_dword s3, s[0:1], 0x18
	s_load_dwordx2 s[6:7], s[0:1], 0x10
	s_load_dword s4, s[0:1], 0x24
	v_mov_b32_e32 v1, v0
	s_waitcnt lgkmcnt(0)
	v_mov_b64_e32 v[2:3], s[8:9]
	v_add_f64 v[2:3], s[10:11], -v[2:3]
	v_cvt_f64_u32_e32 v[4:5], s3
	v_div_scale_f64 v[6:7], s[0:1], v[4:5], v[4:5], v[2:3]
	v_rcp_f64_e32 v[8:9], v[6:7]
	s_add_i32 s0, s2, 1
	s_and_b32 s3, s4, 0xffff
	v_fma_f64 v[10:11], -v[6:7], v[8:9], 1.0
	v_fmac_f64_e32 v[8:9], v[8:9], v[10:11]
	v_fma_f64 v[10:11], -v[6:7], v[8:9], 1.0
	v_fmac_f64_e32 v[8:9], v[8:9], v[10:11]
	v_div_scale_f64 v[10:11], vcc, v[2:3], v[4:5], v[2:3]
	v_mul_f64 v[12:13], v[10:11], v[8:9]
	v_fma_f64 v[6:7], -v[6:7], v[12:13], v[10:11]
	s_nop 1
	v_div_fmas_f64 v[6:7], v[6:7], v[8:9], v[12:13]
	v_div_fixup_f64 v[2:3], v[6:7], v[4:5], v[2:3]
	v_cvt_f64_u32_e32 v[4:5], s0
	v_cvt_f64_u32_e32 v[6:7], s2
	v_fma_f64 v[4:5], v[2:3], v[4:5], s[8:9]
	v_fma_f64 v[2:3], v[2:3], v[6:7], s[8:9]
	s_mov_b32 s8, 0
	s_mov_b32 s9, s8
	;; [unrolled: 1-line block ×4, first 2 shown]
	v_mov_b64_e32 v[6:7], s[8:9]
	v_mov_b64_e32 v[8:9], s[10:11]
	scratch_store_dwordx4 off, v[6:9], off
	scratch_store_dwordx4 off, v[6:9], off offset:16
	scratch_store_dwordx4 off, v[6:9], off offset:32
	;; [unrolled: 1-line block ×7, first 2 shown]
	v_cmp_eq_u32_e64 s[0:1], 0, v0
	s_nop 0
	v_mov_b32_e32 v6, 0
	v_mov_b32_e32 v7, v6
	scratch_store_dwordx2 off, v[6:7], off offset:128
	s_and_saveexec_b64 s[8:9], s[0:1]
	s_cbranch_execz .LBB0_10
; %bb.1:
	s_mov_b32 s4, 0
	s_mov_b32 s5, 0x41d00000
	v_cmp_nlt_f64_e64 s[4:5], |v[2:3]|, s[4:5]
	s_and_b64 vcc, exec, s[4:5]
	s_cbranch_vccz .LBB0_3
; %bb.2:
	s_mov_b32 s4, 0
	s_mov_b32 s5, 0x7b000000
	s_movk_i32 s10, 0xff80
	v_and_b32_e32 v1, 0x7fffffff, v3
	v_ldexp_f64 v[10:11], |v[2:3]|, s10
	v_cmp_ge_f64_e64 vcc, |v[2:3]|, s[4:5]
	v_trig_preop_f64 v[6:7], |v[2:3]|, 0
	v_trig_preop_f64 v[8:9], |v[2:3]|, 1
	v_cndmask_b32_e32 v11, v1, v11, vcc
	v_cndmask_b32_e32 v10, v2, v10, vcc
	v_mul_f64 v[14:15], v[6:7], v[10:11]
	v_mul_f64 v[12:13], v[8:9], v[10:11]
	v_fma_f64 v[6:7], v[6:7], v[10:11], -v[14:15]
	v_add_f64 v[16:17], v[12:13], v[6:7]
	v_add_f64 v[24:25], v[16:17], -v[12:13]
	v_add_f64 v[6:7], v[6:7], -v[24:25]
	;; [unrolled: 1-line block ×4, first 2 shown]
	v_fma_f64 v[8:9], v[8:9], v[10:11], -v[12:13]
	v_trig_preop_f64 v[12:13], |v[2:3]|, 2
	v_add_f64 v[6:7], v[6:7], v[24:25]
	v_mul_f64 v[24:25], v[12:13], v[10:11]
	v_add_f64 v[26:27], v[24:25], v[8:9]
	v_add_f64 v[18:19], v[14:15], v[16:17]
	;; [unrolled: 1-line block ×3, first 2 shown]
	v_ldexp_f64 v[20:21], v[18:19], -2
	v_add_f64 v[14:15], v[18:19], -v[14:15]
	v_add_f64 v[18:19], v[28:29], -v[26:27]
	v_add_f64 v[6:7], v[6:7], -v[18:19]
	v_add_f64 v[18:19], v[28:29], -v[18:19]
	v_add_f64 v[18:19], v[26:27], -v[18:19]
	v_add_f64 v[6:7], v[6:7], v[18:19]
	v_add_f64 v[18:19], v[26:27], -v[24:25]
	v_add_f64 v[8:9], v[8:9], -v[18:19]
	;; [unrolled: 1-line block ×4, first 2 shown]
	v_add_f64 v[8:9], v[8:9], v[18:19]
	s_mov_b32 s4, 0
	v_fract_f64_e32 v[22:23], v[20:21]
	v_add_f64 v[6:7], v[8:9], v[6:7]
	v_fma_f64 v[8:9], v[12:13], v[10:11], -v[24:25]
	s_mov_b32 s5, 0x7ff00000
	v_add_f64 v[14:15], v[16:17], -v[14:15]
	v_add_f64 v[6:7], v[8:9], v[6:7]
	v_ldexp_f64 v[8:9], v[22:23], 2
	v_cmp_neq_f64_e64 vcc, |v[20:21]|, s[4:5]
	v_add_f64 v[16:17], v[14:15], v[28:29]
	s_mov_b32 s12, 0
	v_cndmask_b32_e32 v9, 0, v9, vcc
	v_cndmask_b32_e32 v8, 0, v8, vcc
	v_add_f64 v[10:11], v[16:17], v[8:9]
	v_cmp_gt_f64_e32 vcc, 0, v[10:11]
	s_and_b64 s[4:5], vcc, exec
	s_cselect_b32 s13, 0x40100000, 0
	v_add_f64 v[8:9], v[8:9], s[12:13]
	v_add_f64 v[10:11], v[16:17], v[8:9]
	v_cvt_i32_f64_e32 v1, v[10:11]
	v_cvt_f64_i32_e32 v[10:11], v1
	v_add_f64 v[8:9], v[8:9], -v[10:11]
	v_add_f64 v[10:11], v[16:17], v[8:9]
	v_add_f64 v[14:15], v[16:17], -v[14:15]
	v_cmp_le_f64_e32 vcc, 0.5, v[10:11]
	v_add_f64 v[14:15], v[28:29], -v[14:15]
	v_add_f64 v[8:9], v[10:11], -v[8:9]
	s_and_b64 s[4:5], vcc, exec
	v_add_f64 v[6:7], v[14:15], v[6:7]
	v_add_f64 v[8:9], v[16:17], -v[8:9]
	s_cselect_b32 s13, 0x3ff00000, 0
	v_add_f64 v[6:7], v[6:7], v[8:9]
	v_addc_co_u32_e64 v1, s[4:5], 0, v1, vcc
	v_add_f64 v[8:9], v[10:11], -s[12:13]
	v_add_f64 v[10:11], v[8:9], v[6:7]
	s_mov_b32 s4, 0x54442d18
	v_add_f64 v[8:9], v[10:11], -v[8:9]
	s_mov_b32 s5, 0x3ff921fb
	v_add_f64 v[6:7], v[6:7], -v[8:9]
	v_mul_f64 v[8:9], v[10:11], s[4:5]
	s_mov_b32 s12, 0x33145c07
	v_fma_f64 v[12:13], v[10:11], s[4:5], -v[8:9]
	s_mov_b32 s13, 0x3c91a626
	v_fmac_f64_e32 v[12:13], s[12:13], v[10:11]
	v_fmac_f64_e32 v[12:13], s[4:5], v[6:7]
	v_add_f64 v[6:7], v[8:9], v[12:13]
	v_add_f64 v[8:9], v[6:7], -v[8:9]
	v_add_f64 v[8:9], v[12:13], -v[8:9]
	s_cbranch_execz .LBB0_4
	s_branch .LBB0_5
.LBB0_3:
                                        ; implicit-def: $vgpr1
                                        ; implicit-def: $vgpr6_vgpr7
                                        ; implicit-def: $vgpr8_vgpr9
.LBB0_4:
	s_mov_b32 s4, 0x6dc9c883
	s_mov_b32 s5, 0x3fe45f30
	v_mul_f64 v[6:7], |v[2:3]|, s[4:5]
	s_mov_b32 s4, 0x54442d18
	v_rndne_f64_e32 v[10:11], v[6:7]
	s_mov_b32 s5, 0xbff921fb
	v_fma_f64 v[6:7], v[10:11], s[4:5], |v[2:3]|
	s_mov_b32 s5, 0xbc91a626
	s_mov_b32 s4, 0x33145c00
	v_mul_f64 v[12:13], v[10:11], s[4:5]
	v_add_f64 v[16:17], v[6:7], v[12:13]
	v_fma_f64 v[8:9], s[4:5], v[10:11], v[6:7]
	s_mov_b32 s5, 0x3c91a626
	v_add_f64 v[6:7], v[6:7], -v[16:17]
	v_fma_f64 v[14:15], s[4:5], v[10:11], v[12:13]
	v_add_f64 v[6:7], v[6:7], v[12:13]
	v_add_f64 v[12:13], v[16:17], -v[8:9]
	v_add_f64 v[6:7], v[12:13], v[6:7]
	s_mov_b32 s4, 0x252049c0
	v_add_f64 v[12:13], v[6:7], -v[14:15]
	s_mov_b32 s5, 0xb97b839a
	v_fmac_f64_e32 v[12:13], s[4:5], v[10:11]
	v_add_f64 v[6:7], v[8:9], v[12:13]
	v_add_f64 v[8:9], v[6:7], -v[8:9]
	v_add_f64 v[8:9], v[12:13], -v[8:9]
	v_cvt_i32_f64_e32 v1, v[10:11]
.LBB0_5:
	s_mov_b32 s4, 0
	s_mov_b32 s5, 0x41d00000
	v_cmp_nlt_f64_e64 s[4:5], |v[4:5]|, s[4:5]
	s_and_b64 vcc, exec, s[4:5]
	s_cbranch_vccz .LBB0_7
; %bb.6:
	s_mov_b32 s4, 0
	s_mov_b32 s5, 0x7b000000
	s_movk_i32 s10, 0xff80
	v_and_b32_e32 v16, 0x7fffffff, v5
	v_ldexp_f64 v[14:15], |v[4:5]|, s10
	v_cmp_ge_f64_e64 vcc, |v[4:5]|, s[4:5]
	v_trig_preop_f64 v[10:11], |v[4:5]|, 0
	v_trig_preop_f64 v[12:13], |v[4:5]|, 1
	v_cndmask_b32_e32 v15, v16, v15, vcc
	v_cndmask_b32_e32 v14, v4, v14, vcc
	v_mul_f64 v[18:19], v[10:11], v[14:15]
	v_mul_f64 v[16:17], v[12:13], v[14:15]
	v_fma_f64 v[10:11], v[10:11], v[14:15], -v[18:19]
	v_add_f64 v[20:21], v[16:17], v[10:11]
	v_add_f64 v[28:29], v[20:21], -v[16:17]
	v_add_f64 v[10:11], v[10:11], -v[28:29]
	;; [unrolled: 1-line block ×4, first 2 shown]
	v_fma_f64 v[12:13], v[12:13], v[14:15], -v[16:17]
	v_trig_preop_f64 v[16:17], |v[4:5]|, 2
	v_add_f64 v[10:11], v[10:11], v[28:29]
	v_mul_f64 v[28:29], v[16:17], v[14:15]
	v_add_f64 v[30:31], v[28:29], v[12:13]
	v_add_f64 v[22:23], v[18:19], v[20:21]
	;; [unrolled: 1-line block ×3, first 2 shown]
	v_ldexp_f64 v[24:25], v[22:23], -2
	v_add_f64 v[18:19], v[22:23], -v[18:19]
	v_add_f64 v[22:23], v[32:33], -v[30:31]
	;; [unrolled: 1-line block ×5, first 2 shown]
	v_add_f64 v[10:11], v[10:11], v[22:23]
	v_add_f64 v[22:23], v[30:31], -v[28:29]
	v_add_f64 v[12:13], v[12:13], -v[22:23]
	;; [unrolled: 1-line block ×4, first 2 shown]
	v_add_f64 v[12:13], v[12:13], v[22:23]
	s_mov_b32 s4, 0
	v_fract_f64_e32 v[26:27], v[24:25]
	v_add_f64 v[10:11], v[12:13], v[10:11]
	v_fma_f64 v[12:13], v[16:17], v[14:15], -v[28:29]
	s_mov_b32 s5, 0x7ff00000
	v_add_f64 v[18:19], v[20:21], -v[18:19]
	v_add_f64 v[10:11], v[12:13], v[10:11]
	v_ldexp_f64 v[12:13], v[26:27], 2
	v_cmp_neq_f64_e64 vcc, |v[24:25]|, s[4:5]
	v_add_f64 v[20:21], v[18:19], v[32:33]
	s_mov_b32 s12, 0
	v_cndmask_b32_e32 v13, 0, v13, vcc
	v_cndmask_b32_e32 v12, 0, v12, vcc
	v_add_f64 v[14:15], v[20:21], v[12:13]
	v_cmp_gt_f64_e32 vcc, 0, v[14:15]
	s_and_b64 s[4:5], vcc, exec
	s_cselect_b32 s13, 0x40100000, 0
	v_add_f64 v[12:13], v[12:13], s[12:13]
	v_add_f64 v[14:15], v[20:21], v[12:13]
	v_cvt_i32_f64_e32 v16, v[14:15]
	v_cvt_f64_i32_e32 v[14:15], v16
	v_add_f64 v[12:13], v[12:13], -v[14:15]
	v_add_f64 v[14:15], v[20:21], v[12:13]
	v_add_f64 v[18:19], v[20:21], -v[18:19]
	v_cmp_le_f64_e32 vcc, 0.5, v[14:15]
	v_add_f64 v[18:19], v[32:33], -v[18:19]
	v_add_f64 v[12:13], v[14:15], -v[12:13]
	s_and_b64 s[4:5], vcc, exec
	v_add_f64 v[10:11], v[18:19], v[10:11]
	v_add_f64 v[12:13], v[20:21], -v[12:13]
	s_cselect_b32 s13, 0x3ff00000, 0
	v_add_f64 v[10:11], v[10:11], v[12:13]
	v_addc_co_u32_e64 v18, s[4:5], 0, v16, vcc
	v_add_f64 v[12:13], v[14:15], -s[12:13]
	v_add_f64 v[14:15], v[12:13], v[10:11]
	s_mov_b32 s4, 0x54442d18
	v_add_f64 v[12:13], v[14:15], -v[12:13]
	s_mov_b32 s5, 0x3ff921fb
	v_add_f64 v[10:11], v[10:11], -v[12:13]
	v_mul_f64 v[12:13], v[14:15], s[4:5]
	s_mov_b32 s12, 0x33145c07
	v_fma_f64 v[16:17], v[14:15], s[4:5], -v[12:13]
	s_mov_b32 s13, 0x3c91a626
	v_fmac_f64_e32 v[16:17], s[12:13], v[14:15]
	v_fmac_f64_e32 v[16:17], s[4:5], v[10:11]
	v_add_f64 v[10:11], v[12:13], v[16:17]
	v_add_f64 v[12:13], v[10:11], -v[12:13]
	v_add_f64 v[12:13], v[16:17], -v[12:13]
	s_cbranch_execz .LBB0_8
	s_branch .LBB0_9
.LBB0_7:
                                        ; implicit-def: $vgpr18
                                        ; implicit-def: $vgpr10_vgpr11
                                        ; implicit-def: $vgpr12_vgpr13
.LBB0_8:
	s_mov_b32 s4, 0x6dc9c883
	s_mov_b32 s5, 0x3fe45f30
	v_mul_f64 v[10:11], |v[4:5]|, s[4:5]
	s_mov_b32 s4, 0x54442d18
	v_rndne_f64_e32 v[14:15], v[10:11]
	s_mov_b32 s5, 0xbff921fb
	v_fma_f64 v[10:11], v[14:15], s[4:5], |v[4:5]|
	s_mov_b32 s5, 0xbc91a626
	s_mov_b32 s4, 0x33145c00
	v_mul_f64 v[16:17], v[14:15], s[4:5]
	v_add_f64 v[20:21], v[10:11], v[16:17]
	v_fma_f64 v[12:13], s[4:5], v[14:15], v[10:11]
	s_mov_b32 s5, 0x3c91a626
	v_add_f64 v[10:11], v[10:11], -v[20:21]
	v_fma_f64 v[18:19], s[4:5], v[14:15], v[16:17]
	v_add_f64 v[10:11], v[10:11], v[16:17]
	v_add_f64 v[16:17], v[20:21], -v[12:13]
	v_add_f64 v[10:11], v[16:17], v[10:11]
	s_mov_b32 s4, 0x252049c0
	v_add_f64 v[16:17], v[10:11], -v[18:19]
	s_mov_b32 s5, 0xb97b839a
	v_fmac_f64_e32 v[16:17], s[4:5], v[14:15]
	v_add_f64 v[10:11], v[12:13], v[16:17]
	v_add_f64 v[12:13], v[10:11], -v[12:13]
	v_add_f64 v[12:13], v[16:17], -v[12:13]
	v_cvt_i32_f64_e32 v18, v[14:15]
.LBB0_9:
	s_mov_b32 s10, 0x652b82fe
	s_mov_b32 s11, 0x3ff71547
	v_mul_f64 v[14:15], v[2:3], s[10:11]
	s_mov_b32 s12, 0xfefa39ef
	v_rndne_f64_e32 v[14:15], v[14:15]
	s_mov_b32 s13, 0xbfe62e42
	s_mov_b32 s14, 0x3b39803f
	;; [unrolled: 1-line block ×3, first 2 shown]
	v_fma_f64 v[20:21], s[12:13], v[14:15], v[2:3]
	s_mov_b32 s15, 0xbc7abc9e
	s_mov_b32 s5, 0x3e928af3
	;; [unrolled: 1-line block ×3, first 2 shown]
	v_fmac_f64_e32 v[20:21], s[14:15], v[14:15]
	s_mov_b32 s17, 0x3e5ade15
	v_mov_b64_e32 v[16:17], s[4:5]
	s_mov_b32 s18, 0x623fde64
	v_fma_f64 v[22:23], s[16:17], v[20:21], v[16:17]
	s_mov_b32 s19, 0x3ec71dee
	s_mov_b32 s20, 0x7c89e6b0
	v_fma_f64 v[22:23], v[20:21], v[22:23], s[18:19]
	s_mov_b32 s21, 0x3efa0199
	;; [unrolled: 3-line block ×8, first 2 shown]
	v_fma_f64 v[22:23], v[20:21], v[22:23], s[34:35]
	v_fma_f64 v[22:23], v[20:21], v[22:23], 1.0
	s_mov_b32 s36, 0
	v_fma_f64 v[20:21], v[20:21], v[22:23], 1.0
	v_cvt_i32_f64_e32 v14, v[14:15]
	s_mov_b32 s37, 0x40900000
	s_mov_b32 s38, 0
	v_ldexp_f64 v[14:15], v[20:21], v14
	v_mov_b32_e32 v19, 0x7ff00000
	v_cmp_nlt_f64_e32 vcc, s[36:37], v[2:3]
	s_mov_b32 s39, 0xc090cc00
	v_cmp_ngt_f64_e64 s[4:5], s[38:39], v[2:3]
	v_cndmask_b32_e32 v15, v19, v15, vcc
	s_and_b64 vcc, s[4:5], vcc
	v_cndmask_b32_e64 v15, 0, v15, s[4:5]
	s_mov_b32 s4, 0x9037ab78
	s_mov_b32 s5, 0x3e21eeb6
	;; [unrolled: 1-line block ×3, first 2 shown]
	v_mul_f64 v[20:21], v[6:7], v[6:7]
	s_mov_b32 s41, 0xbda907db
	v_mov_b64_e32 v[28:29], s[4:5]
	s_mov_b32 s42, 0xa17f65f6
	v_mul_f64 v[22:23], v[20:21], 0.5
	v_fma_f64 v[30:31], s[40:41], v[20:21], v[28:29]
	s_mov_b32 s43, 0xbe927e4f
	s_mov_b32 s44, 0x19f4ec90
	v_add_f64 v[24:25], -v[22:23], 1.0
	v_fma_f64 v[30:31], v[20:21], v[30:31], s[42:43]
	s_mov_b32 s45, 0x3efa01a0
	s_mov_b32 s46, 0x16c16967
	v_add_f64 v[26:27], -v[24:25], 1.0
	v_fma_f64 v[30:31], v[20:21], v[30:31], s[44:45]
	s_mov_b32 s47, 0xbf56c16c
	v_add_f64 v[22:23], v[26:27], -v[22:23]
	v_fma_f64 v[30:31], v[20:21], v[30:31], s[46:47]
	s_mov_b32 s48, 0x55555555
	s_mov_b32 s49, s29
	v_mul_f64 v[26:27], v[20:21], v[20:21]
	v_fma_f64 v[30:31], v[20:21], v[30:31], s[48:49]
	v_fma_f64 v[22:23], v[6:7], -v[8:9], v[22:23]
	s_mov_b32 s4, 0xb42fdfa7
	v_fmac_f64_e32 v[22:23], v[26:27], v[30:31]
	s_mov_b32 s5, 0xbe5ae600
	s_mov_b32 s50, 0xf9a43bb8
	v_add_f64 v[22:23], v[24:25], v[22:23]
	s_mov_b32 s51, 0x3de5e0b2
	v_mov_b64_e32 v[24:25], s[4:5]
	s_mov_b32 s52, 0x796cde01
	v_fma_f64 v[26:27], s[50:51], v[20:21], v[24:25]
	s_mov_b32 s53, 0x3ec71de3
	s_mov_b32 s54, 0x19e83e5c
	v_fma_f64 v[26:27], v[20:21], v[26:27], s[52:53]
	s_mov_b32 s55, 0xbf2a01a0
	v_fma_f64 v[26:27], v[20:21], v[26:27], s[54:55]
	s_mov_b32 s56, 0x11110bb3
	s_mov_b32 s57, s27
	v_fma_f64 v[26:27], v[20:21], v[26:27], s[56:57]
	v_mul_f64 v[30:31], v[6:7], -v[20:21]
	v_mul_f64 v[32:33], v[8:9], 0.5
	v_fmac_f64_e32 v[32:33], v[30:31], v[26:27]
	v_fma_f64 v[8:9], v[20:21], v[32:33], -v[8:9]
	s_mov_b32 s59, 0xbfc55555
	s_mov_b32 s58, s48
	v_fmac_f64_e32 v[8:9], s[58:59], v[30:31]
	v_add_f64 v[6:7], v[6:7], -v[8:9]
	v_and_b32_e32 v8, 1, v1
	v_cndmask_b32_e32 v14, 0, v14, vcc
	v_cmp_eq_u32_e32 vcc, 0, v8
	v_mul_f64 v[8:9], v[4:5], s[10:11]
	v_rndne_f64_e32 v[8:9], v[8:9]
	v_fma_f64 v[20:21], s[12:13], v[8:9], v[4:5]
	v_fmac_f64_e32 v[20:21], s[14:15], v[8:9]
	v_fmac_f64_e32 v[16:17], s[16:17], v[20:21]
	v_fma_f64 v[16:17], v[20:21], v[16:17], s[18:19]
	v_fma_f64 v[16:17], v[20:21], v[16:17], s[20:21]
	;; [unrolled: 1-line block ×5, first 2 shown]
	v_lshlrev_b32_e32 v1, 30, v1
	v_fma_f64 v[16:17], v[20:21], v[16:17], s[28:29]
	v_xor_b32_e32 v1, v1, v3
	v_fma_f64 v[16:17], v[20:21], v[16:17], s[30:31]
	v_cndmask_b32_e32 v7, v23, v7, vcc
	v_and_b32_e32 v1, 0x80000000, v1
	s_movk_i32 s33, 0x1f8
	v_fma_f64 v[16:17], v[20:21], v[16:17], s[34:35]
	v_cndmask_b32_e32 v6, v22, v6, vcc
	v_xor_b32_e32 v1, v7, v1
	v_cmp_class_f64_e64 vcc, v[2:3], s33
	v_mov_b32_e32 v30, 0x7ff80000
	v_fma_f64 v[16:17], v[20:21], v[16:17], 1.0
	v_cndmask_b32_e32 v7, v30, v1, vcc
	v_fma_f64 v[16:17], v[20:21], v[16:17], 1.0
	v_cvt_i32_f64_e32 v1, v[8:9]
	v_ldexp_f64 v[8:9], v[16:17], v1
	v_mul_f64 v[16:17], v[10:11], v[10:11]
	v_mul_f64 v[20:21], v[16:17], 0.5
	v_fmac_f64_e32 v[28:29], s[40:41], v[16:17]
	v_add_f64 v[22:23], -v[20:21], 1.0
	v_fma_f64 v[28:29], v[16:17], v[28:29], s[42:43]
	v_add_f64 v[26:27], -v[22:23], 1.0
	v_fma_f64 v[28:29], v[16:17], v[28:29], s[44:45]
	v_add_f64 v[20:21], v[26:27], -v[20:21]
	v_fma_f64 v[28:29], v[16:17], v[28:29], s[46:47]
	v_mul_f64 v[26:27], v[16:17], v[16:17]
	v_fma_f64 v[28:29], v[16:17], v[28:29], s[48:49]
	v_fma_f64 v[20:21], v[10:11], -v[12:13], v[20:21]
	v_fmac_f64_e32 v[20:21], v[26:27], v[28:29]
	v_fmac_f64_e32 v[24:25], s[50:51], v[16:17]
	v_add_f64 v[20:21], v[22:23], v[20:21]
	v_fma_f64 v[22:23], v[16:17], v[24:25], s[52:53]
	v_fma_f64 v[22:23], v[16:17], v[22:23], s[54:55]
	;; [unrolled: 1-line block ×3, first 2 shown]
	v_mul_f64 v[24:25], v[10:11], -v[16:17]
	v_mul_f64 v[26:27], v[12:13], 0.5
	v_cndmask_b32_e32 v6, 0, v6, vcc
	v_cmp_nlt_f64_e32 vcc, s[36:37], v[4:5]
	v_fmac_f64_e32 v[26:27], v[24:25], v[22:23]
	v_cmp_ngt_f64_e64 s[4:5], s[38:39], v[4:5]
	v_cndmask_b32_e32 v1, v19, v9, vcc
	v_fma_f64 v[12:13], v[16:17], v[26:27], -v[12:13]
	v_cndmask_b32_e64 v9, 0, v1, s[4:5]
	s_and_b64 vcc, s[4:5], vcc
	v_fmac_f64_e32 v[12:13], s[58:59], v[24:25]
	v_and_b32_e32 v1, 1, v18
	v_cndmask_b32_e32 v8, 0, v8, vcc
	v_add_f64 v[10:11], v[10:11], -v[12:13]
	v_cmp_eq_u32_e32 vcc, 0, v1
	s_nop 1
	v_cndmask_b32_e32 v1, v20, v10, vcc
	v_cndmask_b32_e32 v10, v21, v11, vcc
	v_lshlrev_b32_e32 v11, 30, v18
	v_xor_b32_e32 v11, v11, v5
	v_and_b32_e32 v11, 0x80000000, v11
	v_xor_b32_e32 v11, v10, v11
	v_cmp_class_f64_e64 vcc, v[4:5], s33
	s_nop 1
	v_cndmask_b32_e32 v10, 0, v1, vcc
	v_cndmask_b32_e32 v11, v30, v11, vcc
	v_mul_f64 v[8:9], v[8:9], v[10:11]
	v_fmac_f64_e32 v[8:9], v[14:15], v[6:7]
	v_mov_b32_e32 v1, s3
	scratch_store_dwordx2 off, v[8:9], off
.LBB0_10:
	s_or_b64 exec, exec, s[8:9]
	v_add_f64 v[4:5], v[4:5], -v[2:3]
	s_mov_b32 s10, 0
	s_mov_b32 s12, 0
	;; [unrolled: 1-line block ×16, first 2 shown]
	s_movk_i32 s33, 0x80
	v_ldexp_f64 v[6:7], v[4:5], -16
	v_sub_u32_e32 v52, 0, v1
	s_mov_b64 s[8:9], 0
	s_mov_b32 s11, 0x41d00000
	s_mov_b32 s13, 0x7b000000
	s_movk_i32 s52, 0xff80
	s_mov_b32 s15, 0x7ff00000
	v_mov_b32_e32 v8, 0
	s_mov_b32 s17, 0x3ff921fb
	s_mov_b32 s19, 0xbff921fb
	;; [unrolled: 1-line block ×16, first 2 shown]
	s_brev_b32 s53, 1
	s_movk_i32 s54, 0x1f8
	s_mov_b32 s55, 0x800000
	s_mov_b32 s56, 0xffff
	v_mov_b32_e32 v10, 0xfca7ab0c
	v_mov_b32_e32 v11, 0x3e928af3
	;; [unrolled: 1-line block ×34, first 2 shown]
	s_branch .LBB0_12
.LBB0_11:                               ;   in Loop: Header=BB0_12 Depth=1
	s_or_b64 exec, exec, s[4:5]
	v_mul_f64 v[54:55], v[46:47], s[30:31]
	v_rndne_f64_e32 v[54:55], v[54:55]
	v_fma_f64 v[56:57], s[34:35], v[54:55], v[46:47]
	v_fmac_f64_e32 v[56:57], s[36:37], v[54:55]
	v_mov_b64_e32 v[58:59], v[10:11]
	v_fmac_f64_e32 v[58:59], s[38:39], v[56:57]
	v_mov_b64_e32 v[60:61], v[12:13]
	;; [unrolled: 2-line block ×9, first 2 shown]
	v_fmac_f64_e32 v[58:59], v[56:57], v[60:61]
	v_fma_f64 v[58:59], v[56:57], v[58:59], 1.0
	v_fma_f64 v[56:57], v[56:57], v[58:59], 1.0
	v_cvt_i32_f64_e32 v9, v[54:55]
	v_ldexp_f64 v[54:55], v[56:57], v9
	v_mul_f64 v[56:57], v[48:49], v[48:49]
	v_mov_b64_e32 v[64:65], v[28:29]
	v_mul_f64 v[58:59], v[56:57], 0.5
	v_fmac_f64_e32 v[64:65], s[44:45], v[56:57]
	v_mov_b64_e32 v[66:67], v[30:31]
	v_add_f64 v[60:61], -v[58:59], 1.0
	v_fmac_f64_e32 v[66:67], v[56:57], v[64:65]
	v_mov_b64_e32 v[64:65], v[32:33]
	v_add_f64 v[62:63], -v[60:61], 1.0
	v_fmac_f64_e32 v[64:65], v[56:57], v[66:67]
	v_mov_b64_e32 v[66:67], v[34:35]
	v_mov_b32_e32 v37, v23
	v_add_f64 v[58:59], v[62:63], -v[58:59]
	v_fmac_f64_e32 v[66:67], v[56:57], v[64:65]
	v_mov_b64_e32 v[64:65], v[36:37]
	v_mul_f64 v[62:63], v[56:57], v[56:57]
	v_fmac_f64_e32 v[64:65], v[56:57], v[66:67]
	v_fma_f64 v[58:59], v[48:49], -v[50:51], v[58:59]
	v_fmac_f64_e32 v[58:59], v[62:63], v[64:65]
	v_add_f64 v[58:59], v[60:61], v[58:59]
	v_mov_b64_e32 v[60:61], v[38:39]
	v_fmac_f64_e32 v[60:61], s[48:49], v[56:57]
	v_mov_b64_e32 v[62:63], v[40:41]
	v_fmac_f64_e32 v[62:63], v[56:57], v[60:61]
	v_mov_b64_e32 v[60:61], v[42:43]
	v_mov_b32_e32 v45, v21
	v_fmac_f64_e32 v[60:61], v[56:57], v[62:63]
	v_mov_b64_e32 v[62:63], v[44:45]
	v_fmac_f64_e32 v[62:63], v[56:57], v[60:61]
	v_mul_f64 v[60:61], v[48:49], -v[56:57]
	v_mul_f64 v[64:65], v[50:51], 0.5
	v_cmp_nlt_f64_e32 vcc, s[40:41], v[46:47]
	v_mov_b32_e32 v9, 0x7ff00000
	v_fmac_f64_e32 v[64:65], v[60:61], v[62:63]
	v_cndmask_b32_e32 v9, v9, v55, vcc
	v_cmp_ngt_f64_e64 s[4:5], s[42:43], v[46:47]
	v_fma_f64 v[50:51], v[56:57], v[64:65], -v[50:51]
	s_and_b64 vcc, s[4:5], vcc
	v_cndmask_b32_e64 v55, 0, v9, s[4:5]
	v_fmac_f64_e32 v[50:51], s[46:47], v[60:61]
	v_and_b32_e32 v9, 1, v53
	v_cndmask_b32_e32 v54, 0, v54, vcc
	v_add_f64 v[48:49], v[48:49], -v[50:51]
	v_cmp_eq_u32_e32 vcc, 0, v9
	v_lshlrev_b32_e32 v45, 30, v53
	v_xor_b32_e32 v45, v45, v47
	v_cndmask_b32_e32 v9, v58, v48, vcc
	v_cndmask_b32_e32 v37, v59, v49, vcc
	v_cmp_class_f64_e64 vcc, v[46:47], s54
	v_bitop3_b32 v37, v37, v45, s53 bitop3:0x78
	s_nop 0
	v_cndmask_b32_e32 v46, 0, v9, vcc
	v_mov_b32_e32 v9, 0x7ff80000
	v_cndmask_b32_e32 v47, v9, v37, vcc
	v_and_b32_e32 v9, v1, v52
	v_cvt_f32_u32_e32 v9, v9
	v_add_u32_e32 v1, s3, v1
	v_mul_f64 v[46:47], v[54:55], v[46:47]
	v_subrev_u32_e32 v52, s3, v52
	v_cmp_gt_f32_e32 vcc, s55, v9
	s_nop 1
	v_cndmask_b32_e64 v37, 0, 32, vcc
	v_ldexp_f32 v9, v9, v37
	v_log_f32_e32 v9, v9
	v_mov_b32_e32 v37, 0x42000000
	v_cndmask_b32_e32 v37, 0, v37, vcc
	v_cmp_lt_u32_e32 vcc, s56, v1
	v_sub_f32_e32 v9, v9, v37
	v_add_f32_e32 v9, 1.0, v9
	v_cvt_u32_f32_e32 v9, v9
	s_or_b64 s[8:9], vcc, s[8:9]
	v_lshlrev_b32_e32 v9, 3, v9
	v_sub_u32_e32 v9, 0, v9
	v_add_u32_e32 v9, 0x88, v9
	scratch_load_dwordx2 v[48:49], v9, off
	s_waitcnt vmcnt(0)
	v_fmac_f64_e32 v[48:49], 2.0, v[46:47]
	scratch_store_dwordx2 v9, v[48:49], off
	s_andn2_b64 exec, exec, s[8:9]
	s_cbranch_execz .LBB0_16
.LBB0_12:                               ; =>This Inner Loop Header: Depth=1
	v_cvt_f64_u32_e32 v[46:47], v1
	v_fma_f64 v[46:47], v[6:7], v[46:47], v[2:3]
	v_cmp_nlt_f64_e64 s[4:5], |v[46:47]|, s[10:11]
                                        ; implicit-def: $vgpr53
                                        ; implicit-def: $vgpr48_vgpr49
                                        ; implicit-def: $vgpr50_vgpr51
	s_and_saveexec_b64 s[50:51], s[4:5]
	s_xor_b64 s[50:51], exec, s[50:51]
	s_cbranch_execz .LBB0_14
; %bb.13:                               ;   in Loop: Header=BB0_12 Depth=1
	v_and_b32_e32 v9, 0x7fffffff, v47
	v_ldexp_f64 v[54:55], |v[46:47]|, s52
	v_cmp_ge_f64_e64 vcc, |v[46:47]|, s[12:13]
	v_trig_preop_f64 v[48:49], |v[46:47]|, 0
	v_trig_preop_f64 v[50:51], |v[46:47]|, 1
	v_cndmask_b32_e32 v55, v9, v55, vcc
	v_cndmask_b32_e32 v54, v46, v54, vcc
	v_mul_f64 v[58:59], v[48:49], v[54:55]
	v_mul_f64 v[56:57], v[50:51], v[54:55]
	v_fma_f64 v[48:49], v[48:49], v[54:55], -v[58:59]
	v_add_f64 v[60:61], v[56:57], v[48:49]
	v_add_f64 v[68:69], v[60:61], -v[56:57]
	v_add_f64 v[48:49], v[48:49], -v[68:69]
	;; [unrolled: 1-line block ×4, first 2 shown]
	v_fma_f64 v[50:51], v[50:51], v[54:55], -v[56:57]
	v_trig_preop_f64 v[56:57], |v[46:47]|, 2
	v_add_f64 v[48:49], v[48:49], v[68:69]
	v_mul_f64 v[68:69], v[56:57], v[54:55]
	v_add_f64 v[70:71], v[68:69], v[50:51]
	v_add_f64 v[62:63], v[58:59], v[60:61]
	;; [unrolled: 1-line block ×3, first 2 shown]
	v_ldexp_f64 v[64:65], v[62:63], -2
	v_add_f64 v[58:59], v[62:63], -v[58:59]
	v_add_f64 v[62:63], v[72:73], -v[70:71]
	;; [unrolled: 1-line block ×5, first 2 shown]
	v_add_f64 v[48:49], v[48:49], v[62:63]
	v_add_f64 v[62:63], v[70:71], -v[68:69]
	v_add_f64 v[50:51], v[50:51], -v[62:63]
	;; [unrolled: 1-line block ×4, first 2 shown]
	v_add_f64 v[50:51], v[50:51], v[62:63]
	v_fract_f64_e32 v[66:67], v[64:65]
	v_add_f64 v[48:49], v[50:51], v[48:49]
	v_fma_f64 v[50:51], v[56:57], v[54:55], -v[68:69]
	v_add_f64 v[58:59], v[60:61], -v[58:59]
	v_add_f64 v[48:49], v[50:51], v[48:49]
	v_ldexp_f64 v[50:51], v[66:67], 2
	v_cmp_neq_f64_e64 vcc, |v[64:65]|, s[14:15]
	v_add_f64 v[60:61], v[58:59], v[72:73]
	v_mov_b32_e32 v9, 0x40100000
	v_cndmask_b32_e32 v51, 0, v51, vcc
	v_cndmask_b32_e32 v50, 0, v50, vcc
	v_add_f64 v[54:55], v[60:61], v[50:51]
	v_cmp_gt_f64_e32 vcc, 0, v[54:55]
	v_add_f64 v[58:59], v[60:61], -v[58:59]
	v_add_f64 v[58:59], v[72:73], -v[58:59]
	v_cndmask_b32_e32 v9, 0, v9, vcc
	v_add_f64 v[50:51], v[50:51], v[8:9]
	v_add_f64 v[54:55], v[60:61], v[50:51]
	v_cvt_i32_f64_e32 v9, v[54:55]
	v_cvt_f64_i32_e32 v[54:55], v9
	v_add_f64 v[50:51], v[50:51], -v[54:55]
	v_add_f64 v[54:55], v[60:61], v[50:51]
	v_cmp_le_f64_e32 vcc, 0.5, v[54:55]
	v_add_f64 v[50:51], v[54:55], -v[50:51]
	v_add_f64 v[48:49], v[58:59], v[48:49]
	v_addc_co_u32_e64 v53, s[4:5], 0, v9, vcc
	v_mov_b32_e32 v9, 0x3ff00000
	v_add_f64 v[50:51], v[60:61], -v[50:51]
	v_cndmask_b32_e32 v9, 0, v9, vcc
	v_add_f64 v[48:49], v[48:49], v[50:51]
	v_add_f64 v[50:51], v[54:55], -v[8:9]
	v_add_f64 v[54:55], v[50:51], v[48:49]
	v_add_f64 v[50:51], v[54:55], -v[50:51]
	s_mov_b32 s16, s18
	v_add_f64 v[48:49], v[48:49], -v[50:51]
	v_mul_f64 v[50:51], v[54:55], s[16:17]
	v_fma_f64 v[56:57], v[54:55], s[16:17], -v[50:51]
	s_mov_b32 s23, s21
	v_fmac_f64_e32 v[56:57], s[22:23], v[54:55]
	v_fmac_f64_e32 v[56:57], s[16:17], v[48:49]
	v_add_f64 v[48:49], v[50:51], v[56:57]
	v_add_f64 v[50:51], v[48:49], -v[50:51]
	v_add_f64 v[50:51], v[56:57], -v[50:51]
.LBB0_14:                               ;   in Loop: Header=BB0_12 Depth=1
	s_andn2_saveexec_b64 s[4:5], s[50:51]
	s_cbranch_execz .LBB0_11
; %bb.15:                               ;   in Loop: Header=BB0_12 Depth=1
	v_mul_f64 v[48:49], |v[46:47]|, s[24:25]
	v_rndne_f64_e32 v[54:55], v[48:49]
	v_fma_f64 v[48:49], v[54:55], s[18:19], |v[46:47]|
	v_mul_f64 v[56:57], v[54:55], s[26:27]
	v_add_f64 v[60:61], v[48:49], v[56:57]
	v_fma_f64 v[50:51], s[26:27], v[54:55], v[48:49]
	s_mov_b32 s20, s26
	v_add_f64 v[48:49], v[48:49], -v[60:61]
	v_fma_f64 v[58:59], s[20:21], v[54:55], v[56:57]
	v_add_f64 v[48:49], v[48:49], v[56:57]
	v_add_f64 v[56:57], v[60:61], -v[50:51]
	v_add_f64 v[48:49], v[56:57], v[48:49]
	v_add_f64 v[56:57], v[48:49], -v[58:59]
	v_fmac_f64_e32 v[56:57], s[28:29], v[54:55]
	v_add_f64 v[48:49], v[50:51], v[56:57]
	v_add_f64 v[50:51], v[48:49], -v[50:51]
	v_add_f64 v[50:51], v[56:57], -v[50:51]
	v_cvt_i32_f64_e32 v53, v[54:55]
	s_branch .LBB0_11
.LBB0_16:
	s_or_b64 exec, exec, s[8:9]
	scratch_load_dwordx4 v[8:11], off, off
	scratch_load_dwordx4 v[12:15], off, off offset:16
	scratch_load_dwordx4 v[16:19], off, off offset:32
	;; [unrolled: 1-line block ×7, first 2 shown]
	scratch_load_dwordx2 v[2:3], off, off offset:128
	s_movk_i32 s4, 0x88
	v_mad_u32_u24 v1, v0, s4, 0
	v_cmp_gt_u32_e32 vcc, 17, v0
	s_waitcnt vmcnt(8)
	ds_write2_b64 v1, v[8:9], v[10:11] offset1:1
	s_waitcnt vmcnt(7)
	ds_write2_b64 v1, v[12:13], v[14:15] offset0:2 offset1:3
	s_waitcnt vmcnt(6)
	ds_write2_b64 v1, v[16:17], v[18:19] offset0:4 offset1:5
	;; [unrolled: 2-line block ×7, first 2 shown]
	s_waitcnt vmcnt(0)
	ds_write_b64 v1, v[2:3] offset:128
	s_waitcnt lgkmcnt(0)
	s_barrier
	s_and_saveexec_b64 s[4:5], vcc
	s_cbranch_execnz .LBB0_19
; %bb.17:
	s_or_b64 exec, exec, s[4:5]
	s_and_saveexec_b64 s[4:5], s[0:1]
	s_cbranch_execnz .LBB0_24
.LBB0_18:
	s_endpgm
.LBB0_19:
	s_mul_i32 s3, s3, 17
	v_cmp_gt_u32_e32 vcc, s3, v0
	v_mov_b64_e32 v[2:3], 0
	s_and_saveexec_b64 s[8:9], vcc
	s_cbranch_execz .LBB0_23
; %bb.20:
	v_lshl_add_u32 v8, v0, 3, 0
	v_mov_b64_e32 v[2:3], 0
	s_mov_b64 s[10:11], 0
	v_mov_b32_e32 v9, v0
.LBB0_21:                               ; =>This Inner Loop Header: Depth=1
	ds_read_b64 v[10:11], v8
	v_add_u32_e32 v9, 17, v9
	v_cmp_le_u32_e32 vcc, s3, v9
	v_add_u32_e32 v8, 0x88, v8
	s_or_b64 s[10:11], vcc, s[10:11]
	s_waitcnt lgkmcnt(0)
	v_add_f64 v[2:3], v[2:3], v[10:11]
	s_andn2_b64 exec, exec, s[10:11]
	s_cbranch_execnz .LBB0_21
; %bb.22:
	s_or_b64 exec, exec, s[10:11]
.LBB0_23:
	s_or_b64 exec, exec, s[8:9]
	v_lshlrev_b32_e32 v0, 7, v0
	v_sub_u32_e32 v0, v1, v0
	ds_write_b64 v0, v[2:3]
	s_or_b64 exec, exec, s[4:5]
	s_and_saveexec_b64 s[4:5], s[0:1]
	s_cbranch_execz .LBB0_18
.LBB0_24:
	v_mov_b32_e32 v36, 0
	ds_read2_b64 v[0:3], v36 offset1:1
	ds_read2_b64 v[8:11], v36 offset0:2 offset1:3
	ds_read2_b64 v[12:15], v36 offset0:4 offset1:5
	;; [unrolled: 1-line block ×3, first 2 shown]
	v_mul_f64 v[38:39], v[4:5], 0.5
	s_waitcnt lgkmcnt(3)
	v_add_f64 v[2:3], v[0:1], v[2:3]
	s_waitcnt lgkmcnt(2)
	v_add_f64 v[20:21], v[2:3], v[8:9]
	v_add_f64 v[22:23], v[20:21], v[10:11]
	ds_read2_b64 v[8:11], v36 offset0:8 offset1:9
	v_mul_f64 v[0:1], v[38:39], v[0:1]
	v_ldexp_f64 v[38:39], v[4:5], -2
	s_waitcnt lgkmcnt(2)
	v_add_f64 v[24:25], v[22:23], v[12:13]
	v_mul_f64 v[2:3], v[38:39], v[2:3]
	v_add_f64 v[26:27], v[24:25], v[14:15]
	scratch_store_dwordx4 off, v[0:3], off
	s_waitcnt lgkmcnt(1)
	v_add_f64 v[28:29], v[26:27], v[16:17]
	ds_read2_b64 v[12:15], v36 offset0:10 offset1:11
	v_ldexp_f64 v[0:1], v[4:5], -3
	v_ldexp_f64 v[2:3], v[4:5], -4
	v_mul_f64 v[0:1], v[0:1], v[20:21]
	v_mul_f64 v[2:3], v[2:3], v[22:23]
	v_add_f64 v[30:31], v[28:29], v[18:19]
	scratch_store_dwordx4 off, v[0:3], off offset:16
	s_waitcnt lgkmcnt(1)
	v_add_f64 v[32:33], v[30:31], v[8:9]
	v_add_f64 v[34:35], v[32:33], v[10:11]
	v_ldexp_f64 v[0:1], v[4:5], -5
	v_ldexp_f64 v[2:3], v[4:5], -6
	v_mul_f64 v[0:1], v[0:1], v[24:25]
	v_mul_f64 v[2:3], v[2:3], v[26:27]
	ds_read2_b64 v[8:11], v36 offset0:12 offset1:13
	ds_read2_b64 v[16:19], v36 offset0:14 offset1:15
	scratch_store_dwordx4 off, v[0:3], off offset:32
	s_waitcnt lgkmcnt(2)
	v_add_f64 v[12:13], v[34:35], v[12:13]
	v_add_f64 v[14:15], v[12:13], v[14:15]
	v_ldexp_f64 v[0:1], v[4:5], -7
	v_ldexp_f64 v[2:3], v[4:5], -8
	v_mul_f64 v[0:1], v[0:1], v[28:29]
	v_mul_f64 v[2:3], v[2:3], v[30:31]
	scratch_store_dwordx4 off, v[0:3], off offset:48
	ds_read_b64 v[36:37], v36 offset:128
	s_waitcnt lgkmcnt(2)
	v_add_f64 v[8:9], v[14:15], v[8:9]
	v_ldexp_f64 v[0:1], v[4:5], -9
	v_ldexp_f64 v[2:3], v[4:5], -10
	v_mul_f64 v[0:1], v[0:1], v[32:33]
	v_mul_f64 v[2:3], v[2:3], v[34:35]
	scratch_store_dwordx4 off, v[0:3], off offset:64
	v_add_f64 v[10:11], v[8:9], v[10:11]
	s_waitcnt lgkmcnt(1)
	v_add_f64 v[16:17], v[10:11], v[16:17]
	v_ldexp_f64 v[0:1], v[4:5], -11
	v_ldexp_f64 v[2:3], v[4:5], -12
	v_mul_f64 v[0:1], v[0:1], v[12:13]
	v_mul_f64 v[2:3], v[2:3], v[14:15]
	scratch_store_dwordx4 off, v[0:3], off offset:80
	v_add_f64 v[18:19], v[16:17], v[18:19]
	s_movk_i32 s3, 0xffef
	v_ldexp_f64 v[0:1], v[4:5], -13
	v_ldexp_f64 v[2:3], v[4:5], -14
	v_mul_f64 v[0:1], v[0:1], v[8:9]
	v_mul_f64 v[2:3], v[2:3], v[10:11]
	scratch_store_dwordx4 off, v[0:3], off offset:96
	s_waitcnt lgkmcnt(0)
	v_add_f64 v[36:37], v[18:19], v[36:37]
	s_movk_i32 s0, 0x78
	v_ldexp_f64 v[0:1], v[4:5], -15
	v_mul_f64 v[0:1], v[0:1], v[16:17]
	v_mul_f64 v[2:3], v[6:7], v[18:19]
	scratch_store_dwordx4 off, v[0:3], off offset:112
	s_mov_b32 s1, 0
	s_nop 0
	v_ldexp_f64 v[0:1], v[4:5], s3
	v_mul_f64 v[0:1], v[0:1], v[36:37]
	scratch_store_dwordx2 off, v[0:1], off offset:128
.LBB0_25:                               ; =>This Loop Header: Depth=1
                                        ;     Child Loop BB0_26 Depth 2
                                        ;     Child Loop BB0_28 Depth 2
	;; [unrolled: 1-line block ×4, first 2 shown]
	s_lshl_b32 s3, s1, 1
	s_lshl_b32 s3, 2, s3
	s_add_i32 s3, s3, -1
	v_cvt_f64_u32_e32 v[0:1], s3
	s_mov_b32 s3, s0
	s_mov_b32 s4, 16
.LBB0_26:                               ;   Parent Loop BB0_25 Depth=1
                                        ; =>  This Inner Loop Header: Depth=2
	scratch_load_dwordx4 v[2:5], off, s3
	s_add_i32 s5, s3, 8
	s_add_i32 s4, s4, -1
	s_add_i32 s3, s3, -8
	s_cmp_le_u32 s4, s1
	s_waitcnt vmcnt(0)
	v_add_f64 v[2:3], v[4:5], -v[2:3]
	v_div_scale_f64 v[6:7], s[8:9], v[0:1], v[0:1], v[2:3]
	v_rcp_f64_e32 v[8:9], v[6:7]
	v_div_scale_f64 v[10:11], vcc, v[2:3], v[0:1], v[2:3]
	v_fma_f64 v[12:13], -v[6:7], v[8:9], 1.0
	v_fmac_f64_e32 v[8:9], v[8:9], v[12:13]
	v_fma_f64 v[12:13], -v[6:7], v[8:9], 1.0
	v_fmac_f64_e32 v[8:9], v[8:9], v[12:13]
	v_mul_f64 v[12:13], v[10:11], v[8:9]
	v_fma_f64 v[6:7], -v[6:7], v[12:13], v[10:11]
	v_div_fmas_f64 v[6:7], v[6:7], v[8:9], v[12:13]
	v_div_fixup_f64 v[2:3], v[6:7], v[0:1], v[2:3]
	v_add_f64 v[2:3], v[4:5], v[2:3]
	scratch_store_dwordx2 off, v[2:3], s5
	s_cbranch_scc0 .LBB0_26
; %bb.27:                               ;   in Loop: Header=BB0_25 Depth=1
	s_or_b32 s3, s1, 1
	s_lshl_b32 s4, s3, 1
	s_lshl_b32 s4, 2, s4
	s_add_i32 s4, s4, -1
	v_cvt_f64_u32_e32 v[0:1], s4
	s_mov_b32 s4, 16
	s_mov_b32 s5, s33
.LBB0_28:                               ;   Parent Loop BB0_25 Depth=1
                                        ; =>  This Inner Loop Header: Depth=2
	s_add_i32 s10, s5, -8
	scratch_load_dwordx4 v[2:5], off, s10
	s_add_i32 s4, s4, -1
	s_cmp_gt_u32 s4, s3
	s_waitcnt vmcnt(0)
	v_add_f64 v[2:3], v[4:5], -v[2:3]
	v_div_scale_f64 v[6:7], s[8:9], v[0:1], v[0:1], v[2:3]
	v_rcp_f64_e32 v[8:9], v[6:7]
	v_div_scale_f64 v[10:11], vcc, v[2:3], v[0:1], v[2:3]
	v_fma_f64 v[12:13], -v[6:7], v[8:9], 1.0
	v_fmac_f64_e32 v[8:9], v[8:9], v[12:13]
	v_fma_f64 v[12:13], -v[6:7], v[8:9], 1.0
	v_fmac_f64_e32 v[8:9], v[8:9], v[12:13]
	v_mul_f64 v[12:13], v[10:11], v[8:9]
	v_fma_f64 v[6:7], -v[6:7], v[12:13], v[10:11]
	v_div_fmas_f64 v[6:7], v[6:7], v[8:9], v[12:13]
	v_div_fixup_f64 v[2:3], v[6:7], v[0:1], v[2:3]
	v_add_f64 v[2:3], v[4:5], v[2:3]
	scratch_store_dwordx2 off, v[2:3], s5
	s_mov_b32 s5, s10
	s_cbranch_scc1 .LBB0_28
; %bb.29:                               ;   in Loop: Header=BB0_25 Depth=1
	s_or_b32 s3, s1, 2
	s_lshl_b32 s4, s3, 1
	s_lshl_b32 s4, 2, s4
	s_add_i32 s4, s4, -1
	v_cvt_f64_u32_e32 v[0:1], s4
	s_mov_b32 s4, 16
	s_mov_b32 s5, s33
.LBB0_30:                               ;   Parent Loop BB0_25 Depth=1
                                        ; =>  This Inner Loop Header: Depth=2
	s_add_i32 s10, s5, -8
	scratch_load_dwordx4 v[2:5], off, s10
	s_add_i32 s4, s4, -1
	s_cmp_gt_u32 s4, s3
	s_waitcnt vmcnt(0)
	v_add_f64 v[2:3], v[4:5], -v[2:3]
	v_div_scale_f64 v[6:7], s[8:9], v[0:1], v[0:1], v[2:3]
	v_rcp_f64_e32 v[8:9], v[6:7]
	v_div_scale_f64 v[10:11], vcc, v[2:3], v[0:1], v[2:3]
	v_fma_f64 v[12:13], -v[6:7], v[8:9], 1.0
	v_fmac_f64_e32 v[8:9], v[8:9], v[12:13]
	v_fma_f64 v[12:13], -v[6:7], v[8:9], 1.0
	v_fmac_f64_e32 v[8:9], v[8:9], v[12:13]
	v_mul_f64 v[12:13], v[10:11], v[8:9]
	v_fma_f64 v[6:7], -v[6:7], v[12:13], v[10:11]
	v_div_fmas_f64 v[6:7], v[6:7], v[8:9], v[12:13]
	v_div_fixup_f64 v[2:3], v[6:7], v[0:1], v[2:3]
	v_add_f64 v[2:3], v[4:5], v[2:3]
	scratch_store_dwordx2 off, v[2:3], s5
	s_mov_b32 s5, s10
	s_cbranch_scc1 .LBB0_30
	;; [unrolled: 31-line block ×3, first 2 shown]
; %bb.33:                               ;   in Loop: Header=BB0_25 Depth=1
	s_add_i32 s1, s1, 4
	s_cmp_eq_u32 s1, 16
	s_cbranch_scc0 .LBB0_25
; %bb.34:
	scratch_load_dwordx2 v[0:1], off, off offset:128
	s_mov_b32 s3, 0
	s_lshl_b64 s[0:1], s[2:3], 3
	s_add_u32 s0, s6, s0
	s_addc_u32 s1, s7, s1
	v_mov_b32_e32 v2, 0
	s_waitcnt vmcnt(0)
	global_store_dwordx2 v2, v[0:1], s[0:1]
	s_endpgm
	.section	.rodata,"a",@progbits
	.p2align	6, 0x0
	.amdhsa_kernel _Z7rombergddPd
		.amdhsa_group_segment_fixed_size 0
		.amdhsa_private_segment_fixed_size 144
		.amdhsa_kernarg_size 280
		.amdhsa_user_sgpr_count 2
		.amdhsa_user_sgpr_dispatch_ptr 0
		.amdhsa_user_sgpr_queue_ptr 0
		.amdhsa_user_sgpr_kernarg_segment_ptr 1
		.amdhsa_user_sgpr_dispatch_id 0
		.amdhsa_user_sgpr_kernarg_preload_length 0
		.amdhsa_user_sgpr_kernarg_preload_offset 0
		.amdhsa_user_sgpr_private_segment_size 0
		.amdhsa_uses_dynamic_stack 0
		.amdhsa_enable_private_segment 1
		.amdhsa_system_sgpr_workgroup_id_x 1
		.amdhsa_system_sgpr_workgroup_id_y 0
		.amdhsa_system_sgpr_workgroup_id_z 0
		.amdhsa_system_sgpr_workgroup_info 0
		.amdhsa_system_vgpr_workitem_id 0
		.amdhsa_next_free_vgpr 74
		.amdhsa_next_free_sgpr 60
		.amdhsa_accum_offset 76
		.amdhsa_reserve_vcc 1
		.amdhsa_float_round_mode_32 0
		.amdhsa_float_round_mode_16_64 0
		.amdhsa_float_denorm_mode_32 3
		.amdhsa_float_denorm_mode_16_64 3
		.amdhsa_dx10_clamp 1
		.amdhsa_ieee_mode 1
		.amdhsa_fp16_overflow 0
		.amdhsa_tg_split 0
		.amdhsa_exception_fp_ieee_invalid_op 0
		.amdhsa_exception_fp_denorm_src 0
		.amdhsa_exception_fp_ieee_div_zero 0
		.amdhsa_exception_fp_ieee_overflow 0
		.amdhsa_exception_fp_ieee_underflow 0
		.amdhsa_exception_fp_ieee_inexact 0
		.amdhsa_exception_int_div_zero 0
	.end_amdhsa_kernel
	.text
.Lfunc_end0:
	.size	_Z7rombergddPd, .Lfunc_end0-_Z7rombergddPd
                                        ; -- End function
	.set _Z7rombergddPd.num_vgpr, 74
	.set _Z7rombergddPd.num_agpr, 0
	.set _Z7rombergddPd.numbered_sgpr, 60
	.set _Z7rombergddPd.num_named_barrier, 0
	.set _Z7rombergddPd.private_seg_size, 144
	.set _Z7rombergddPd.uses_vcc, 1
	.set _Z7rombergddPd.uses_flat_scratch, 0
	.set _Z7rombergddPd.has_dyn_sized_stack, 0
	.set _Z7rombergddPd.has_recursion, 0
	.set _Z7rombergddPd.has_indirect_call, 0
	.section	.AMDGPU.csdata,"",@progbits
; Kernel info:
; codeLenInByte = 6732
; TotalNumSgprs: 66
; NumVgprs: 74
; NumAgprs: 0
; TotalNumVgprs: 74
; ScratchSize: 144
; MemoryBound: 0
; FloatMode: 240
; IeeeMode: 1
; LDSByteSize: 0 bytes/workgroup (compile time only)
; SGPRBlocks: 8
; VGPRBlocks: 9
; NumSGPRsForWavesPerEU: 66
; NumVGPRsForWavesPerEU: 74
; AccumOffset: 76
; Occupancy: 6
; WaveLimiterHint : 0
; COMPUTE_PGM_RSRC2:SCRATCH_EN: 1
; COMPUTE_PGM_RSRC2:USER_SGPR: 2
; COMPUTE_PGM_RSRC2:TRAP_HANDLER: 0
; COMPUTE_PGM_RSRC2:TGID_X_EN: 1
; COMPUTE_PGM_RSRC2:TGID_Y_EN: 0
; COMPUTE_PGM_RSRC2:TGID_Z_EN: 0
; COMPUTE_PGM_RSRC2:TIDIG_COMP_CNT: 0
; COMPUTE_PGM_RSRC3_GFX90A:ACCUM_OFFSET: 18
; COMPUTE_PGM_RSRC3_GFX90A:TG_SPLIT: 0
	.text
	.p2alignl 6, 3212836864
	.fill 256, 4, 3212836864
	.section	.AMDGPU.gpr_maximums,"",@progbits
	.set amdgpu.max_num_vgpr, 0
	.set amdgpu.max_num_agpr, 0
	.set amdgpu.max_num_sgpr, 0
	.text
	.type	__hip_cuid_87955004c335b7d1,@object ; @__hip_cuid_87955004c335b7d1
	.section	.bss,"aw",@nobits
	.globl	__hip_cuid_87955004c335b7d1
__hip_cuid_87955004c335b7d1:
	.byte	0                               ; 0x0
	.size	__hip_cuid_87955004c335b7d1, 1

	.ident	"AMD clang version 22.0.0git (https://github.com/RadeonOpenCompute/llvm-project roc-7.2.4 26084 f58b06dce1f9c15707c5f808fd002e18c2accf7e)"
	.section	".note.GNU-stack","",@progbits
	.addrsig
	.addrsig_sym __hip_cuid_87955004c335b7d1
	.amdgpu_metadata
---
amdhsa.kernels:
  - .agpr_count:     0
    .args:
      - .offset:         0
        .size:           8
        .value_kind:     by_value
      - .offset:         8
        .size:           8
        .value_kind:     by_value
      - .address_space:  global
        .offset:         16
        .size:           8
        .value_kind:     global_buffer
      - .offset:         24
        .size:           4
        .value_kind:     hidden_block_count_x
      - .offset:         28
        .size:           4
        .value_kind:     hidden_block_count_y
      - .offset:         32
        .size:           4
        .value_kind:     hidden_block_count_z
      - .offset:         36
        .size:           2
        .value_kind:     hidden_group_size_x
      - .offset:         38
        .size:           2
        .value_kind:     hidden_group_size_y
      - .offset:         40
        .size:           2
        .value_kind:     hidden_group_size_z
      - .offset:         42
        .size:           2
        .value_kind:     hidden_remainder_x
      - .offset:         44
        .size:           2
        .value_kind:     hidden_remainder_y
      - .offset:         46
        .size:           2
        .value_kind:     hidden_remainder_z
      - .offset:         64
        .size:           8
        .value_kind:     hidden_global_offset_x
      - .offset:         72
        .size:           8
        .value_kind:     hidden_global_offset_y
      - .offset:         80
        .size:           8
        .value_kind:     hidden_global_offset_z
      - .offset:         88
        .size:           2
        .value_kind:     hidden_grid_dims
      - .offset:         144
        .size:           4
        .value_kind:     hidden_dynamic_lds_size
    .group_segment_fixed_size: 0
    .kernarg_segment_align: 8
    .kernarg_segment_size: 280
    .language:       OpenCL C
    .language_version:
      - 2
      - 0
    .max_flat_workgroup_size: 1024
    .name:           _Z7rombergddPd
    .private_segment_fixed_size: 144
    .sgpr_count:     66
    .sgpr_spill_count: 0
    .symbol:         _Z7rombergddPd.kd
    .uniform_work_group_size: 1
    .uses_dynamic_stack: false
    .vgpr_count:     74
    .vgpr_spill_count: 0
    .wavefront_size: 64
amdhsa.target:   amdgcn-amd-amdhsa--gfx950
amdhsa.version:
  - 1
  - 2
...

	.end_amdgpu_metadata
